;; amdgpu-corpus repo=ROCm/rocFFT kind=compiled arch=gfx1201 opt=O3
	.text
	.amdgcn_target "amdgcn-amd-amdhsa--gfx1201"
	.amdhsa_code_object_version 6
	.protected	fft_rtc_fwd_len1134_factors_2_3_3_3_3_7_wgs_126_tpt_126_sp_op_CI_CI_unitstride_sbrr_C2R_dirReg ; -- Begin function fft_rtc_fwd_len1134_factors_2_3_3_3_3_7_wgs_126_tpt_126_sp_op_CI_CI_unitstride_sbrr_C2R_dirReg
	.globl	fft_rtc_fwd_len1134_factors_2_3_3_3_3_7_wgs_126_tpt_126_sp_op_CI_CI_unitstride_sbrr_C2R_dirReg
	.p2align	8
	.type	fft_rtc_fwd_len1134_factors_2_3_3_3_3_7_wgs_126_tpt_126_sp_op_CI_CI_unitstride_sbrr_C2R_dirReg,@function
fft_rtc_fwd_len1134_factors_2_3_3_3_3_7_wgs_126_tpt_126_sp_op_CI_CI_unitstride_sbrr_C2R_dirReg: ; @fft_rtc_fwd_len1134_factors_2_3_3_3_3_7_wgs_126_tpt_126_sp_op_CI_CI_unitstride_sbrr_C2R_dirReg
; %bb.0:
	s_clause 0x2
	s_load_b128 s[8:11], s[0:1], 0x0
	s_load_b128 s[4:7], s[0:1], 0x58
	;; [unrolled: 1-line block ×3, first 2 shown]
	v_mul_u32_u24_e32 v1, 0x209, v0
	v_mov_b32_e32 v3, 0
	s_delay_alu instid0(VALU_DEP_2) | instskip(NEXT) | instid1(VALU_DEP_1)
	v_lshrrev_b32_e32 v1, 16, v1
	v_add_nc_u32_e32 v5, ttmp9, v1
	v_mov_b32_e32 v1, 0
	v_mov_b32_e32 v2, 0
	;; [unrolled: 1-line block ×3, first 2 shown]
	s_wait_kmcnt 0x0
	v_cmp_lt_u64_e64 s2, s[10:11], 2
	s_delay_alu instid0(VALU_DEP_1)
	s_and_b32 vcc_lo, exec_lo, s2
	s_cbranch_vccnz .LBB0_8
; %bb.1:
	s_load_b64 s[2:3], s[0:1], 0x10
	v_mov_b32_e32 v1, 0
	v_mov_b32_e32 v2, 0
	s_add_nc_u64 s[16:17], s[14:15], 8
	s_add_nc_u64 s[18:19], s[12:13], 8
	s_mov_b64 s[20:21], 1
	s_delay_alu instid0(VALU_DEP_1)
	v_dual_mov_b32 v27, v2 :: v_dual_mov_b32 v26, v1
	s_wait_kmcnt 0x0
	s_add_nc_u64 s[22:23], s[2:3], 8
	s_mov_b32 s3, 0
.LBB0_2:                                ; =>This Inner Loop Header: Depth=1
	s_load_b64 s[24:25], s[22:23], 0x0
                                        ; implicit-def: $vgpr28_vgpr29
	s_mov_b32 s2, exec_lo
	s_wait_kmcnt 0x0
	v_or_b32_e32 v4, s25, v6
	s_delay_alu instid0(VALU_DEP_1)
	v_cmpx_ne_u64_e32 0, v[3:4]
	s_wait_alu 0xfffe
	s_xor_b32 s26, exec_lo, s2
	s_cbranch_execz .LBB0_4
; %bb.3:                                ;   in Loop: Header=BB0_2 Depth=1
	s_cvt_f32_u32 s2, s24
	s_cvt_f32_u32 s27, s25
	s_sub_nc_u64 s[30:31], 0, s[24:25]
	s_wait_alu 0xfffe
	s_delay_alu instid0(SALU_CYCLE_1) | instskip(SKIP_1) | instid1(SALU_CYCLE_2)
	s_fmamk_f32 s2, s27, 0x4f800000, s2
	s_wait_alu 0xfffe
	v_s_rcp_f32 s2, s2
	s_delay_alu instid0(TRANS32_DEP_1) | instskip(SKIP_1) | instid1(SALU_CYCLE_2)
	s_mul_f32 s2, s2, 0x5f7ffffc
	s_wait_alu 0xfffe
	s_mul_f32 s27, s2, 0x2f800000
	s_wait_alu 0xfffe
	s_delay_alu instid0(SALU_CYCLE_2) | instskip(SKIP_1) | instid1(SALU_CYCLE_2)
	s_trunc_f32 s27, s27
	s_wait_alu 0xfffe
	s_fmamk_f32 s2, s27, 0xcf800000, s2
	s_cvt_u32_f32 s29, s27
	s_wait_alu 0xfffe
	s_delay_alu instid0(SALU_CYCLE_1) | instskip(SKIP_1) | instid1(SALU_CYCLE_2)
	s_cvt_u32_f32 s28, s2
	s_wait_alu 0xfffe
	s_mul_u64 s[34:35], s[30:31], s[28:29]
	s_wait_alu 0xfffe
	s_mul_hi_u32 s37, s28, s35
	s_mul_i32 s36, s28, s35
	s_mul_hi_u32 s2, s28, s34
	s_mul_i32 s33, s29, s34
	s_wait_alu 0xfffe
	s_add_nc_u64 s[36:37], s[2:3], s[36:37]
	s_mul_hi_u32 s27, s29, s34
	s_mul_hi_u32 s38, s29, s35
	s_add_co_u32 s2, s36, s33
	s_wait_alu 0xfffe
	s_add_co_ci_u32 s2, s37, s27
	s_mul_i32 s34, s29, s35
	s_add_co_ci_u32 s35, s38, 0
	s_wait_alu 0xfffe
	s_add_nc_u64 s[34:35], s[2:3], s[34:35]
	s_wait_alu 0xfffe
	v_add_co_u32 v4, s2, s28, s34
	s_delay_alu instid0(VALU_DEP_1) | instskip(SKIP_1) | instid1(VALU_DEP_1)
	s_cmp_lg_u32 s2, 0
	s_add_co_ci_u32 s29, s29, s35
	v_readfirstlane_b32 s28, v4
	s_wait_alu 0xfffe
	s_delay_alu instid0(VALU_DEP_1)
	s_mul_u64 s[30:31], s[30:31], s[28:29]
	s_wait_alu 0xfffe
	s_mul_hi_u32 s35, s28, s31
	s_mul_i32 s34, s28, s31
	s_mul_hi_u32 s2, s28, s30
	s_mul_i32 s33, s29, s30
	s_wait_alu 0xfffe
	s_add_nc_u64 s[34:35], s[2:3], s[34:35]
	s_mul_hi_u32 s27, s29, s30
	s_mul_hi_u32 s28, s29, s31
	s_wait_alu 0xfffe
	s_add_co_u32 s2, s34, s33
	s_add_co_ci_u32 s2, s35, s27
	s_mul_i32 s30, s29, s31
	s_add_co_ci_u32 s31, s28, 0
	s_wait_alu 0xfffe
	s_add_nc_u64 s[30:31], s[2:3], s[30:31]
	s_wait_alu 0xfffe
	v_add_co_u32 v4, s2, v4, s30
	s_delay_alu instid0(VALU_DEP_1) | instskip(SKIP_1) | instid1(VALU_DEP_1)
	s_cmp_lg_u32 s2, 0
	s_add_co_ci_u32 s2, s29, s31
	v_mul_hi_u32 v13, v5, v4
	s_wait_alu 0xfffe
	v_mad_co_u64_u32 v[7:8], null, v5, s2, 0
	v_mad_co_u64_u32 v[9:10], null, v6, v4, 0
	;; [unrolled: 1-line block ×3, first 2 shown]
	s_delay_alu instid0(VALU_DEP_3) | instskip(SKIP_1) | instid1(VALU_DEP_4)
	v_add_co_u32 v4, vcc_lo, v13, v7
	s_wait_alu 0xfffd
	v_add_co_ci_u32_e32 v7, vcc_lo, 0, v8, vcc_lo
	s_delay_alu instid0(VALU_DEP_2) | instskip(SKIP_1) | instid1(VALU_DEP_2)
	v_add_co_u32 v4, vcc_lo, v4, v9
	s_wait_alu 0xfffd
	v_add_co_ci_u32_e32 v4, vcc_lo, v7, v10, vcc_lo
	s_wait_alu 0xfffd
	v_add_co_ci_u32_e32 v7, vcc_lo, 0, v12, vcc_lo
	s_delay_alu instid0(VALU_DEP_2) | instskip(SKIP_1) | instid1(VALU_DEP_2)
	v_add_co_u32 v4, vcc_lo, v4, v11
	s_wait_alu 0xfffd
	v_add_co_ci_u32_e32 v9, vcc_lo, 0, v7, vcc_lo
	s_delay_alu instid0(VALU_DEP_2) | instskip(SKIP_1) | instid1(VALU_DEP_3)
	v_mul_lo_u32 v10, s25, v4
	v_mad_co_u64_u32 v[7:8], null, s24, v4, 0
	v_mul_lo_u32 v11, s24, v9
	s_delay_alu instid0(VALU_DEP_2) | instskip(NEXT) | instid1(VALU_DEP_2)
	v_sub_co_u32 v7, vcc_lo, v5, v7
	v_add3_u32 v8, v8, v11, v10
	s_delay_alu instid0(VALU_DEP_1) | instskip(SKIP_1) | instid1(VALU_DEP_1)
	v_sub_nc_u32_e32 v10, v6, v8
	s_wait_alu 0xfffd
	v_subrev_co_ci_u32_e64 v10, s2, s25, v10, vcc_lo
	v_add_co_u32 v11, s2, v4, 2
	s_wait_alu 0xf1ff
	v_add_co_ci_u32_e64 v12, s2, 0, v9, s2
	v_sub_co_u32 v13, s2, v7, s24
	v_sub_co_ci_u32_e32 v8, vcc_lo, v6, v8, vcc_lo
	s_wait_alu 0xf1ff
	v_subrev_co_ci_u32_e64 v10, s2, 0, v10, s2
	s_delay_alu instid0(VALU_DEP_3) | instskip(NEXT) | instid1(VALU_DEP_3)
	v_cmp_le_u32_e32 vcc_lo, s24, v13
	v_cmp_eq_u32_e64 s2, s25, v8
	s_wait_alu 0xfffd
	v_cndmask_b32_e64 v13, 0, -1, vcc_lo
	v_cmp_le_u32_e32 vcc_lo, s25, v10
	s_wait_alu 0xfffd
	v_cndmask_b32_e64 v14, 0, -1, vcc_lo
	v_cmp_le_u32_e32 vcc_lo, s24, v7
	;; [unrolled: 3-line block ×3, first 2 shown]
	s_wait_alu 0xfffd
	v_cndmask_b32_e64 v15, 0, -1, vcc_lo
	v_cmp_eq_u32_e32 vcc_lo, s25, v10
	s_wait_alu 0xf1ff
	s_delay_alu instid0(VALU_DEP_2)
	v_cndmask_b32_e64 v7, v15, v7, s2
	s_wait_alu 0xfffd
	v_cndmask_b32_e32 v10, v14, v13, vcc_lo
	v_add_co_u32 v13, vcc_lo, v4, 1
	s_wait_alu 0xfffd
	v_add_co_ci_u32_e32 v14, vcc_lo, 0, v9, vcc_lo
	s_delay_alu instid0(VALU_DEP_3) | instskip(SKIP_1) | instid1(VALU_DEP_2)
	v_cmp_ne_u32_e32 vcc_lo, 0, v10
	s_wait_alu 0xfffd
	v_cndmask_b32_e32 v8, v14, v12, vcc_lo
	v_cndmask_b32_e32 v10, v13, v11, vcc_lo
	v_cmp_ne_u32_e32 vcc_lo, 0, v7
	s_wait_alu 0xfffd
	s_delay_alu instid0(VALU_DEP_2)
	v_dual_cndmask_b32 v29, v9, v8 :: v_dual_cndmask_b32 v28, v4, v10
.LBB0_4:                                ;   in Loop: Header=BB0_2 Depth=1
	s_wait_alu 0xfffe
	s_and_not1_saveexec_b32 s2, s26
	s_cbranch_execz .LBB0_6
; %bb.5:                                ;   in Loop: Header=BB0_2 Depth=1
	v_cvt_f32_u32_e32 v4, s24
	s_sub_co_i32 s26, 0, s24
	v_mov_b32_e32 v29, v3
	s_delay_alu instid0(VALU_DEP_2) | instskip(NEXT) | instid1(TRANS32_DEP_1)
	v_rcp_iflag_f32_e32 v4, v4
	v_mul_f32_e32 v4, 0x4f7ffffe, v4
	s_delay_alu instid0(VALU_DEP_1) | instskip(SKIP_1) | instid1(VALU_DEP_1)
	v_cvt_u32_f32_e32 v4, v4
	s_wait_alu 0xfffe
	v_mul_lo_u32 v7, s26, v4
	s_delay_alu instid0(VALU_DEP_1) | instskip(NEXT) | instid1(VALU_DEP_1)
	v_mul_hi_u32 v7, v4, v7
	v_add_nc_u32_e32 v4, v4, v7
	s_delay_alu instid0(VALU_DEP_1) | instskip(NEXT) | instid1(VALU_DEP_1)
	v_mul_hi_u32 v4, v5, v4
	v_mul_lo_u32 v7, v4, s24
	v_add_nc_u32_e32 v8, 1, v4
	s_delay_alu instid0(VALU_DEP_2) | instskip(NEXT) | instid1(VALU_DEP_1)
	v_sub_nc_u32_e32 v7, v5, v7
	v_subrev_nc_u32_e32 v9, s24, v7
	v_cmp_le_u32_e32 vcc_lo, s24, v7
	s_wait_alu 0xfffd
	s_delay_alu instid0(VALU_DEP_2) | instskip(NEXT) | instid1(VALU_DEP_1)
	v_dual_cndmask_b32 v7, v7, v9 :: v_dual_cndmask_b32 v4, v4, v8
	v_cmp_le_u32_e32 vcc_lo, s24, v7
	s_delay_alu instid0(VALU_DEP_2) | instskip(SKIP_1) | instid1(VALU_DEP_1)
	v_add_nc_u32_e32 v8, 1, v4
	s_wait_alu 0xfffd
	v_cndmask_b32_e32 v28, v4, v8, vcc_lo
.LBB0_6:                                ;   in Loop: Header=BB0_2 Depth=1
	s_wait_alu 0xfffe
	s_or_b32 exec_lo, exec_lo, s2
	v_mul_lo_u32 v4, v29, s24
	s_delay_alu instid0(VALU_DEP_2)
	v_mul_lo_u32 v9, v28, s25
	s_load_b64 s[26:27], s[18:19], 0x0
	v_mad_co_u64_u32 v[7:8], null, v28, s24, 0
	s_load_b64 s[24:25], s[16:17], 0x0
	s_add_nc_u64 s[20:21], s[20:21], 1
	s_add_nc_u64 s[16:17], s[16:17], 8
	s_wait_alu 0xfffe
	v_cmp_ge_u64_e64 s2, s[20:21], s[10:11]
	s_add_nc_u64 s[18:19], s[18:19], 8
	s_add_nc_u64 s[22:23], s[22:23], 8
	v_add3_u32 v4, v8, v9, v4
	v_sub_co_u32 v5, vcc_lo, v5, v7
	s_wait_alu 0xfffd
	s_delay_alu instid0(VALU_DEP_2) | instskip(SKIP_2) | instid1(VALU_DEP_1)
	v_sub_co_ci_u32_e32 v4, vcc_lo, v6, v4, vcc_lo
	s_and_b32 vcc_lo, exec_lo, s2
	s_wait_kmcnt 0x0
	v_mul_lo_u32 v6, s26, v4
	v_mul_lo_u32 v7, s27, v5
	v_mad_co_u64_u32 v[1:2], null, s26, v5, v[1:2]
	v_mul_lo_u32 v4, s24, v4
	v_mul_lo_u32 v8, s25, v5
	v_mad_co_u64_u32 v[26:27], null, s24, v5, v[26:27]
	s_delay_alu instid0(VALU_DEP_4) | instskip(NEXT) | instid1(VALU_DEP_2)
	v_add3_u32 v2, v7, v2, v6
	v_add3_u32 v27, v8, v27, v4
	s_wait_alu 0xfffe
	s_cbranch_vccnz .LBB0_9
; %bb.7:                                ;   in Loop: Header=BB0_2 Depth=1
	v_dual_mov_b32 v5, v28 :: v_dual_mov_b32 v6, v29
	s_branch .LBB0_2
.LBB0_8:
	v_dual_mov_b32 v27, v2 :: v_dual_mov_b32 v26, v1
	v_dual_mov_b32 v29, v6 :: v_dual_mov_b32 v28, v5
.LBB0_9:
	s_load_b64 s[0:1], s[0:1], 0x28
	v_mul_hi_u32 v3, 0x2082083, v0
	s_lshl_b64 s[10:11], s[10:11], 3
                                        ; implicit-def: $vgpr30
	s_wait_alu 0xfffe
	s_add_nc_u64 s[2:3], s[14:15], s[10:11]
	s_wait_kmcnt 0x0
	v_cmp_gt_u64_e32 vcc_lo, s[0:1], v[28:29]
	v_cmp_le_u64_e64 s0, s[0:1], v[28:29]
	s_delay_alu instid0(VALU_DEP_1)
	s_and_saveexec_b32 s1, s0
	s_wait_alu 0xfffe
	s_xor_b32 s0, exec_lo, s1
; %bb.10:
	v_mul_u32_u24_e32 v1, 0x7e, v3
                                        ; implicit-def: $vgpr3
	s_delay_alu instid0(VALU_DEP_1)
	v_sub_nc_u32_e32 v30, v0, v1
                                        ; implicit-def: $vgpr0
                                        ; implicit-def: $vgpr1_vgpr2
; %bb.11:
	s_wait_alu 0xfffe
	s_or_saveexec_b32 s1, s0
	s_load_b64 s[2:3], s[2:3], 0x0
	s_xor_b32 exec_lo, exec_lo, s1
	s_cbranch_execz .LBB0_15
; %bb.12:
	s_add_nc_u64 s[10:11], s[12:13], s[10:11]
	v_lshlrev_b64_e32 v[1:2], 3, v[1:2]
	s_load_b64 s[10:11], s[10:11], 0x0
	s_wait_kmcnt 0x0
	v_mul_lo_u32 v6, s11, v28
	v_mul_lo_u32 v7, s10, v29
	v_mad_co_u64_u32 v[4:5], null, s10, v28, 0
	s_delay_alu instid0(VALU_DEP_1) | instskip(SKIP_1) | instid1(VALU_DEP_2)
	v_add3_u32 v5, v5, v7, v6
	v_mul_u32_u24_e32 v6, 0x7e, v3
	v_lshlrev_b64_e32 v[3:4], 3, v[4:5]
	s_delay_alu instid0(VALU_DEP_2) | instskip(NEXT) | instid1(VALU_DEP_1)
	v_sub_nc_u32_e32 v30, v0, v6
	v_lshlrev_b32_e32 v20, 3, v30
	s_delay_alu instid0(VALU_DEP_3) | instskip(SKIP_1) | instid1(VALU_DEP_4)
	v_add_co_u32 v0, s0, s4, v3
	s_wait_alu 0xf1ff
	v_add_co_ci_u32_e64 v3, s0, s5, v4, s0
	s_mov_b32 s4, exec_lo
	s_delay_alu instid0(VALU_DEP_2) | instskip(SKIP_1) | instid1(VALU_DEP_2)
	v_add_co_u32 v0, s0, v0, v1
	s_wait_alu 0xf1ff
	v_add_co_ci_u32_e64 v1, s0, v3, v2, s0
	s_delay_alu instid0(VALU_DEP_2) | instskip(SKIP_1) | instid1(VALU_DEP_2)
	v_add_co_u32 v2, s0, v0, v20
	s_wait_alu 0xf1ff
	v_add_co_ci_u32_e64 v3, s0, 0, v1, s0
	s_clause 0x8
	global_load_b64 v[4:5], v[2:3], off
	global_load_b64 v[6:7], v[2:3], off offset:1008
	global_load_b64 v[8:9], v[2:3], off offset:2016
	;; [unrolled: 1-line block ×8, first 2 shown]
	v_add_nc_u32_e32 v20, 0, v20
	s_delay_alu instid0(VALU_DEP_1)
	v_add_nc_u32_e32 v21, 0x400, v20
	v_add_nc_u32_e32 v22, 0xc00, v20
	;; [unrolled: 1-line block ×3, first 2 shown]
	s_wait_loadcnt 0x7
	ds_store_2addr_b64 v20, v[4:5], v[6:7] offset1:126
	s_wait_loadcnt 0x5
	ds_store_2addr_b64 v21, v[8:9], v[10:11] offset0:124 offset1:250
	s_wait_loadcnt 0x3
	ds_store_2addr_b64 v22, v[12:13], v[14:15] offset0:120 offset1:246
	;; [unrolled: 2-line block ×3, first 2 shown]
	s_wait_loadcnt 0x0
	ds_store_b64 v20, v[2:3] offset:8064
	v_cmpx_eq_u32_e32 0x7d, v30
	s_cbranch_execz .LBB0_14
; %bb.13:
	global_load_b64 v[0:1], v[0:1], off offset:9072
	v_mov_b32_e32 v2, 0
	v_mov_b32_e32 v30, 0x7d
	s_wait_loadcnt 0x0
	ds_store_b64 v2, v[0:1] offset:9072
.LBB0_14:
	s_wait_alu 0xfffe
	s_or_b32 exec_lo, exec_lo, s4
.LBB0_15:
	s_delay_alu instid0(SALU_CYCLE_1)
	s_or_b32 exec_lo, exec_lo, s1
	v_lshlrev_b32_e32 v8, 3, v30
	global_wb scope:SCOPE_SE
	s_wait_dscnt 0x0
	s_wait_kmcnt 0x0
	s_barrier_signal -1
	s_barrier_wait -1
	global_inv scope:SCOPE_SE
	v_add_nc_u32_e32 v35, 0, v8
	v_sub_nc_u32_e32 v4, 0, v8
	s_mov_b32 s1, exec_lo
	ds_load_b32 v1, v35
	ds_load_b32 v2, v4 offset:9072
	s_wait_dscnt 0x0
	v_dual_add_f32 v0, v2, v1 :: v_dual_sub_f32 v1, v1, v2
                                        ; implicit-def: $vgpr2_vgpr3
	v_cmpx_ne_u32_e32 0, v30
	s_wait_alu 0xfffe
	s_xor_b32 s1, exec_lo, s1
	s_cbranch_execz .LBB0_17
; %bb.16:
	v_mov_b32_e32 v31, 0
	s_delay_alu instid0(VALU_DEP_1) | instskip(NEXT) | instid1(VALU_DEP_1)
	v_lshlrev_b64_e32 v[2:3], 3, v[30:31]
	v_add_co_u32 v2, s0, s8, v2
	s_wait_alu 0xf1ff
	s_delay_alu instid0(VALU_DEP_2)
	v_add_co_ci_u32_e64 v3, s0, s9, v3, s0
	global_load_b64 v[2:3], v[2:3], off offset:9056
	ds_load_b32 v5, v4 offset:9076
	ds_load_b32 v6, v35 offset:4
	s_wait_dscnt 0x0
	v_add_f32_e32 v7, v5, v6
	v_sub_f32_e32 v5, v6, v5
	s_wait_loadcnt 0x0
	s_delay_alu instid0(VALU_DEP_1) | instskip(SKIP_2) | instid1(VALU_DEP_3)
	v_fma_f32 v10, v7, v3, -v5
	v_fma_f32 v11, v1, v3, v0
	v_fma_f32 v9, -v1, v3, v0
                                        ; implicit-def: $vgpr0
	v_fmac_f32_e32 v10, v1, v2
	v_fma_f32 v6, v7, v3, v5
	s_delay_alu instid0(VALU_DEP_4) | instskip(NEXT) | instid1(VALU_DEP_2)
	v_fma_f32 v5, -v2, v7, v11
	v_dual_fmac_f32 v9, v2, v7 :: v_dual_fmac_f32 v6, v1, v2
	v_dual_mov_b32 v2, v30 :: v_dual_mov_b32 v3, v31
	ds_store_b64 v35, v[5:6]
	ds_store_b64 v4, v[9:10] offset:9072
.LBB0_17:
	s_wait_alu 0xfffe
	s_and_not1_saveexec_b32 s0, s1
	s_cbranch_execz .LBB0_19
; %bb.18:
	v_mov_b32_e32 v5, 0
	ds_store_b64 v35, v[0:1]
	v_mov_b32_e32 v2, 0
	v_mov_b32_e32 v3, 0
	ds_load_b64 v[0:1], v5 offset:4536
	s_wait_dscnt 0x0
	v_dual_add_f32 v0, v0, v0 :: v_dual_mul_f32 v1, -2.0, v1
	ds_store_b64 v5, v[0:1] offset:4536
.LBB0_19:
	s_wait_alu 0xfffe
	s_or_b32 exec_lo, exec_lo, s0
	v_lshlrev_b64_e32 v[0:1], 3, v[2:3]
	s_add_nc_u64 s[0:1], s[8:9], 0x2360
	s_wait_alu 0xfffe
	s_delay_alu instid0(VALU_DEP_1) | instskip(SKIP_1) | instid1(VALU_DEP_2)
	v_add_co_u32 v0, s0, s0, v0
	s_wait_alu 0xf1ff
	v_add_co_ci_u32_e64 v1, s0, s1, v1, s0
	v_cmp_gt_u32_e64 s0, 63, v30
	s_clause 0x2
	global_load_b64 v[2:3], v[0:1], off offset:1008
	global_load_b64 v[5:6], v[0:1], off offset:2016
	;; [unrolled: 1-line block ×3, first 2 shown]
	ds_load_b64 v[11:12], v35 offset:1008
	ds_load_b64 v[13:14], v4 offset:8064
	s_wait_dscnt 0x0
	v_dual_add_f32 v15, v14, v12 :: v_dual_sub_f32 v16, v11, v13
	v_add_f32_e32 v7, v11, v13
	v_sub_f32_e32 v11, v12, v14
	s_wait_loadcnt 0x2
	s_delay_alu instid0(VALU_DEP_1) | instskip(SKIP_1) | instid1(VALU_DEP_2)
	v_fma_f32 v12, v15, v3, v11
	v_fma_f32 v14, v15, v3, -v11
	v_fmac_f32_e32 v12, v16, v2
	v_fma_f32 v17, v16, v3, v7
	v_fma_f32 v13, -v16, v3, v7
	s_delay_alu instid0(VALU_DEP_4) | instskip(NEXT) | instid1(VALU_DEP_3)
	v_fmac_f32_e32 v14, v16, v2
	v_fma_f32 v11, -v2, v15, v17
	s_delay_alu instid0(VALU_DEP_3)
	v_fmac_f32_e32 v13, v2, v15
	ds_store_b64 v35, v[11:12] offset:1008
	ds_store_b64 v4, v[13:14] offset:8064
	ds_load_b64 v[2:3], v35 offset:2016
	ds_load_b64 v[11:12], v4 offset:7056
	s_wait_dscnt 0x0
	v_add_f32_e32 v7, v2, v11
	v_sub_f32_e32 v14, v2, v11
	v_dual_add_f32 v13, v12, v3 :: v_dual_sub_f32 v2, v3, v12
	s_wait_loadcnt 0x1
	s_delay_alu instid0(VALU_DEP_2) | instskip(NEXT) | instid1(VALU_DEP_2)
	v_fma_f32 v11, -v14, v6, v7
	v_fma_f32 v12, v13, v6, -v2
	s_delay_alu instid0(VALU_DEP_1) | instskip(SKIP_1) | instid1(VALU_DEP_4)
	v_fmac_f32_e32 v12, v14, v5
	v_fma_f32 v3, v13, v6, v2
	v_fmac_f32_e32 v11, v5, v13
	v_fma_f32 v15, v14, v6, v7
	s_delay_alu instid0(VALU_DEP_3) | instskip(NEXT) | instid1(VALU_DEP_2)
	v_fmac_f32_e32 v3, v14, v5
	v_fma_f32 v2, -v5, v13, v15
	ds_store_b64 v35, v[2:3] offset:2016
	ds_store_b64 v4, v[11:12] offset:7056
	ds_load_b64 v[2:3], v35 offset:3024
	ds_load_b64 v[5:6], v4 offset:6048
	s_wait_dscnt 0x0
	v_add_f32_e32 v7, v2, v5
	v_sub_f32_e32 v12, v2, v5
	v_dual_add_f32 v11, v6, v3 :: v_dual_sub_f32 v2, v3, v6
	s_wait_loadcnt 0x0
	s_delay_alu instid0(VALU_DEP_2) | instskip(NEXT) | instid1(VALU_DEP_2)
	v_fma_f32 v5, -v12, v10, v7
	v_fma_f32 v6, v11, v10, -v2
	s_delay_alu instid0(VALU_DEP_1) | instskip(SKIP_1) | instid1(VALU_DEP_4)
	v_fmac_f32_e32 v6, v12, v9
	v_fma_f32 v3, v11, v10, v2
	v_fmac_f32_e32 v5, v9, v11
	v_fma_f32 v13, v12, v10, v7
	s_delay_alu instid0(VALU_DEP_3) | instskip(NEXT) | instid1(VALU_DEP_2)
	v_fmac_f32_e32 v3, v12, v9
	v_fma_f32 v2, -v9, v11, v13
	ds_store_b64 v35, v[2:3] offset:3024
	ds_store_b64 v4, v[5:6] offset:6048
	s_and_saveexec_b32 s1, s0
	s_cbranch_execz .LBB0_21
; %bb.20:
	global_load_b64 v[0:1], v[0:1], off offset:4032
	ds_load_b64 v[2:3], v35 offset:4032
	ds_load_b64 v[5:6], v4 offset:5040
	s_wait_dscnt 0x0
	v_add_f32_e32 v7, v2, v5
	v_add_f32_e32 v9, v6, v3
	v_dual_sub_f32 v10, v2, v5 :: v_dual_sub_f32 v3, v3, v6
	s_wait_loadcnt 0x0
	s_delay_alu instid0(VALU_DEP_1) | instskip(NEXT) | instid1(VALU_DEP_2)
	v_fma_f32 v11, v10, v1, v7
	v_fma_f32 v2, v9, v1, v3
	v_fma_f32 v5, -v10, v1, v7
	v_fma_f32 v6, v9, v1, -v3
	s_delay_alu instid0(VALU_DEP_4) | instskip(NEXT) | instid1(VALU_DEP_3)
	v_fma_f32 v1, -v0, v9, v11
	v_dual_fmac_f32 v2, v10, v0 :: v_dual_fmac_f32 v5, v0, v9
	s_delay_alu instid0(VALU_DEP_3)
	v_fmac_f32_e32 v6, v10, v0
	ds_store_b64 v35, v[1:2] offset:4032
	ds_store_b64 v4, v[5:6] offset:5040
.LBB0_21:
	s_wait_alu 0xfffe
	s_or_b32 exec_lo, exec_lo, s1
	global_wb scope:SCOPE_SE
	s_wait_dscnt 0x0
	s_barrier_signal -1
	s_barrier_wait -1
	global_inv scope:SCOPE_SE
	global_wb scope:SCOPE_SE
	s_barrier_signal -1
	s_barrier_wait -1
	global_inv scope:SCOPE_SE
	ds_load_2addr_b64 v[9:12], v35 offset1:126
	v_add_nc_u32_e32 v5, 0xc00, v35
	v_add_nc_u32_e32 v4, 0x1400, v35
	;; [unrolled: 1-line block ×4, first 2 shown]
	ds_load_2addr_b64 v[0:3], v5 offset0:120 offset1:183
	ds_load_2addr_b64 v[13:16], v4 offset0:53 offset1:179
	;; [unrolled: 1-line block ×4, first 2 shown]
	v_add_nc_u32_e32 v36, 0x7e, v30
	v_add_nc_u32_e32 v7, 0xfc, v30
	v_lshlrev_b32_e32 v25, 4, v30
	global_wb scope:SCOPE_SE
	s_wait_dscnt 0x0
	s_barrier_signal -1
	s_barrier_wait -1
	global_inv scope:SCOPE_SE
	v_dual_sub_f32 v13, v11, v13 :: v_dual_sub_f32 v2, v9, v2
	v_dual_sub_f32 v32, v1, v24 :: v_dual_sub_f32 v3, v10, v3
	v_dual_sub_f32 v14, v12, v14 :: v_dual_sub_f32 v15, v17, v15
	v_sub_f32_e32 v22, v20, v22
	v_dual_sub_f32 v16, v18, v16 :: v_dual_sub_f32 v21, v19, v21
	v_fma_f32 v9, v9, 2.0, -v2
	v_fma_f32 v10, v10, 2.0, -v3
	v_sub_f32_e32 v31, v0, v23
	v_add_nc_u32_e32 v23, v35, v8
	v_fma_f32 v11, v11, 2.0, -v13
	v_fma_f32 v12, v12, 2.0, -v14
	v_lshl_add_u32 v24, v36, 4, 0
	v_fma_f32 v17, v17, 2.0, -v15
	v_fma_f32 v18, v18, 2.0, -v16
	v_lshl_add_u32 v33, v7, 4, 0
	v_fma_f32 v19, v19, 2.0, -v21
	v_fma_f32 v20, v20, 2.0, -v22
	v_add3_u32 v25, v25, 0, 0x17a0
	ds_store_2addr_b64 v23, v[9:10], v[2:3] offset1:1
	ds_store_2addr_b64 v24, v[11:12], v[13:14] offset1:1
	;; [unrolled: 1-line block ×4, first 2 shown]
	s_and_saveexec_b32 s1, s0
	s_cbranch_execz .LBB0_23
; %bb.22:
	v_fma_f32 v1, v1, 2.0, -v32
	v_fma_f32 v0, v0, 2.0, -v31
	v_add3_u32 v2, v35, v8, 0x1f80
	ds_store_2addr_b64 v2, v[0:1], v[31:32] offset1:1
.LBB0_23:
	s_wait_alu 0xfffe
	s_or_b32 exec_lo, exec_lo, s1
	v_and_b32_e32 v24, 1, v30
	global_wb scope:SCOPE_SE
	s_wait_dscnt 0x0
	s_barrier_signal -1
	s_barrier_wait -1
	global_inv scope:SCOPE_SE
	v_lshlrev_b32_e32 v0, 4, v24
	v_lshrrev_b32_e32 v25, 1, v30
	v_lshrrev_b32_e32 v33, 1, v36
	;; [unrolled: 1-line block ×3, first 2 shown]
	v_cmp_gt_u32_e64 s0, 36, v30
	global_load_b128 v[8:11], v0, s[8:9]
	ds_load_2addr_b64 v[12:15], v35 offset1:126
	ds_load_2addr_b64 v[16:19], v6 offset0:124 offset1:250
	ds_load_2addr_b64 v[20:23], v4 offset0:116 offset1:242
	;; [unrolled: 1-line block ×3, first 2 shown]
	ds_load_b64 v[2:3], v35 offset:8064
	v_and_b32_e32 v0, 0xff, v30
	v_and_b32_e32 v1, 0xff, v36
	;; [unrolled: 1-line block ×3, first 2 shown]
	v_mul_u32_u24_e32 v25, 6, v25
	v_mul_u32_u24_e32 v33, 6, v33
	;; [unrolled: 1-line block ×3, first 2 shown]
	global_wb scope:SCOPE_SE
	s_wait_loadcnt_dscnt 0x0
	s_barrier_signal -1
	s_barrier_wait -1
	global_inv scope:SCOPE_SE
	v_mul_f32_e32 v52, v11, v20
	v_mul_f32_e32 v55, v11, v23
	v_mul_lo_u16 v42, 0xab, v0
	v_mul_u32_u24_e32 v44, 0xaaab, v41
	v_mul_f32_e32 v50, v9, v18
	v_mul_lo_u16 v43, 0xab, v1
	v_mul_f32_e32 v49, v9, v19
	v_lshrrev_b16 v42, 10, v42
	v_lshrrev_b32_e32 v44, 18, v44
	v_mul_f32_e32 v51, v11, v21
	v_lshrrev_b16 v43, 10, v43
	v_or_b32_e32 v25, v25, v24
	v_mul_lo_u16 v45, v42, 6
	v_mul_lo_u16 v47, v44, 6
	v_or_b32_e32 v33, v33, v24
	v_mul_lo_u16 v46, v43, 6
	v_or_b32_e32 v24, v34, v24
	v_sub_nc_u16 v45, v30, v45
	v_sub_nc_u16 v34, v7, v47
	v_dual_mul_f32 v53, v9, v38 :: v_dual_mul_f32 v58, v11, v3
	v_sub_nc_u16 v46, v36, v46
	s_delay_alu instid0(VALU_DEP_4) | instskip(SKIP_4) | instid1(VALU_DEP_4)
	v_dual_mul_f32 v56, v11, v22 :: v_dual_and_b32 v45, 0xff, v45
	v_dual_mul_f32 v54, v9, v37 :: v_dual_mul_f32 v59, v11, v2
	v_fma_f32 v11, v8, v18, -v49
	v_fma_f32 v18, v10, v20, -v51
	v_dual_mul_f32 v57, v9, v40 :: v_dual_and_b32 v46, 0xff, v46
	v_dual_fmac_f32 v59, v10, v3 :: v_dual_and_b32 v34, 0xffff, v34
	v_dual_mul_f32 v40, v8, v40 :: v_dual_lshlrev_b32 v47, 4, v45
	s_delay_alu instid0(VALU_DEP_4)
	v_dual_fmac_f32 v50, v8, v19 :: v_dual_add_f32 v3, v11, v18
	v_fmac_f32_e32 v52, v10, v21
	v_fma_f32 v19, v8, v37, -v53
	v_fma_f32 v20, v10, v22, -v55
	v_fmac_f32_e32 v54, v8, v38
	v_dual_fmac_f32 v56, v10, v23 :: v_dual_sub_f32 v23, v11, v18
	v_fma_f32 v8, v8, v39, -v57
	v_fma_f32 v21, v10, v2, -v58
	v_dual_add_f32 v37, v19, v20 :: v_dual_fmac_f32 v40, v9, v39
	v_dual_add_f32 v39, v15, v54 :: v_dual_add_f32 v2, v12, v11
	v_add_f32_e32 v49, v54, v56
	v_dual_add_f32 v9, v13, v50 :: v_dual_add_f32 v10, v50, v52
	s_delay_alu instid0(VALU_DEP_4)
	v_dual_sub_f32 v53, v40, v59 :: v_dual_lshlrev_b32 v48, 4, v46
	v_add_f32_e32 v11, v14, v19
	v_dual_sub_f32 v22, v50, v52 :: v_dual_add_f32 v51, v8, v21
	v_dual_sub_f32 v38, v54, v56 :: v_dual_sub_f32 v55, v8, v21
	v_dual_sub_f32 v50, v19, v20 :: v_dual_fmac_f32 v15, -0.5, v49
	v_dual_add_f32 v19, v16, v8 :: v_dual_add_f32 v2, v2, v18
	v_fma_f32 v8, -0.5, v3, v12
	v_add_f32_e32 v3, v9, v52
	v_fma_f32 v9, -0.5, v10, v13
	s_delay_alu instid0(VALU_DEP_4)
	v_add_f32_e32 v12, v19, v21
	v_add_f32_e32 v54, v17, v40
	;; [unrolled: 1-line block ×3, first 2 shown]
	v_fma_f32 v14, -0.5, v37, v14
	v_fma_f32 v16, -0.5, v51, v16
	v_fmamk_f32 v19, v23, 0xbf5db3d7, v9
	v_dual_add_f32 v10, v11, v20 :: v_dual_add_f32 v13, v54, v59
	v_add_f32_e32 v11, v39, v56
	v_dual_fmac_f32 v17, -0.5, v40 :: v_dual_fmamk_f32 v18, v22, 0x3f5db3d7, v8
	v_lshl_add_u32 v25, v25, 3, 0
	v_dual_fmac_f32 v8, 0xbf5db3d7, v22 :: v_dual_fmamk_f32 v21, v50, 0xbf5db3d7, v15
	v_dual_fmac_f32 v9, 0x3f5db3d7, v23 :: v_dual_fmamk_f32 v20, v38, 0x3f5db3d7, v14
	v_lshl_add_u32 v33, v33, 3, 0
	v_dual_fmac_f32 v14, 0xbf5db3d7, v38 :: v_dual_fmamk_f32 v23, v55, 0xbf5db3d7, v17
	v_dual_fmac_f32 v15, 0x3f5db3d7, v50 :: v_dual_fmamk_f32 v22, v53, 0x3f5db3d7, v16
	v_lshl_add_u32 v24, v24, 3, 0
	v_fmac_f32_e32 v16, 0xbf5db3d7, v53
	v_fmac_f32_e32 v17, 0x3f5db3d7, v55
	ds_store_2addr_b64 v25, v[2:3], v[18:19] offset1:2
	ds_store_b64 v25, v[8:9] offset:32
	ds_store_2addr_b64 v33, v[10:11], v[20:21] offset1:2
	ds_store_b64 v33, v[14:15] offset:32
	;; [unrolled: 2-line block ×3, first 2 shown]
	v_lshlrev_b32_e32 v2, 4, v34
	global_wb scope:SCOPE_SE
	s_wait_dscnt 0x0
	s_barrier_signal -1
	s_barrier_wait -1
	global_inv scope:SCOPE_SE
	s_clause 0x2
	global_load_b128 v[8:11], v47, s[8:9] offset:32
	global_load_b128 v[12:15], v48, s[8:9] offset:32
	;; [unrolled: 1-line block ×3, first 2 shown]
	v_mul_lo_u16 v2, v0, 57
	v_mul_lo_u16 v3, v1, 57
	v_mul_u32_u24_e32 v20, 0xe38f, v41
	v_mul_u32_u24_e32 v47, 0x90, v44
	ds_load_2addr_b64 v[37:40], v4 offset0:116 offset1:242
	v_lshrrev_b16 v24, 10, v2
	v_lshrrev_b16 v25, 10, v3
	v_and_b32_e32 v2, 0xffff, v42
	v_and_b32_e32 v3, 0xffff, v43
	ds_load_2addr_b64 v[41:44], v5 offset0:120 offset1:246
	v_lshrrev_b32_e32 v33, 20, v20
	v_mul_lo_u16 v20, v24, 18
	v_mul_lo_u16 v21, v25, 18
	v_lshlrev_b32_e32 v45, 3, v45
	v_lshlrev_b32_e32 v46, 3, v46
	v_mul_lo_u16 v22, v33, 18
	v_lshlrev_b32_e32 v34, 3, v34
	v_mul_lo_u16 v1, v1, 19
	v_mul_lo_u16 v0, v0, 19
	v_mul_u32_u24_e32 v33, 0x1b0, v33
	v_sub_nc_u16 v50, v7, v22
	s_delay_alu instid0(VALU_DEP_1)
	v_and_b32_e32 v50, 0xffff, v50
	s_wait_loadcnt_dscnt 0x201
	v_mul_f32_e32 v57, v11, v38
	v_mul_f32_e32 v11, v11, v37
	v_mul_u32_u24_e32 v48, 0x90, v2
	v_sub_nc_u16 v2, v30, v20
	s_wait_loadcnt_dscnt 0x100
	v_mul_f32_e32 v58, v13, v42
	v_mul_u32_u24_e32 v49, 0x90, v3
	v_sub_nc_u16 v3, v36, v21
	ds_load_2addr_b64 v[20:23], v6 offset0:124 offset1:250
	v_and_b32_e32 v51, 0xff, v2
	v_mul_f32_e32 v59, v15, v40
	v_add3_u32 v49, 0, v49, v46
	v_and_b32_e32 v52, 0xff, v3
	ds_load_b64 v[2:3], v35 offset:8064
	v_mul_f32_e32 v15, v15, v39
	v_add3_u32 v34, 0, v47, v34
	s_wait_loadcnt 0x0
	v_mul_f32_e32 v60, v17, v44
	v_add3_u32 v55, 0, v48, v45
	ds_load_2addr_b64 v[45:48], v35 offset1:126
	v_mul_f32_e32 v13, v13, v41
	v_mul_f32_e32 v17, v17, v43
	v_fmac_f32_e32 v15, v14, v40
	global_wb scope:SCOPE_SE
	s_wait_dscnt 0x0
	s_barrier_signal -1
	v_fmac_f32_e32 v13, v12, v42
	v_fmac_f32_e32 v17, v16, v44
	s_barrier_wait -1
	global_inv scope:SCOPE_SE
	v_mul_f32_e32 v56, v9, v23
	v_dual_mul_f32 v9, v9, v22 :: v_dual_lshlrev_b32 v54, 4, v52
	v_lshlrev_b32_e32 v53, 4, v51
	s_delay_alu instid0(VALU_DEP_3) | instskip(SKIP_4) | instid1(VALU_DEP_3)
	v_fma_f32 v22, v8, v22, -v56
	v_mul_f32_e32 v61, v3, v19
	v_mul_f32_e32 v19, v2, v19
	v_fmac_f32_e32 v9, v8, v23
	v_fma_f32 v8, v10, v37, -v57
	v_dual_add_f32 v40, v48, v13 :: v_dual_fmac_f32 v19, v3, v18
	v_fmac_f32_e32 v11, v10, v38
	v_fma_f32 v10, v12, v41, -v58
	v_fma_f32 v12, v14, v39, -v59
	;; [unrolled: 1-line block ×4, first 2 shown]
	v_dual_add_f32 v2, v45, v22 :: v_dual_add_f32 v3, v22, v8
	s_delay_alu instid0(VALU_DEP_4) | instskip(NEXT) | instid1(VALU_DEP_4)
	v_add_f32_e32 v38, v10, v12
	v_add_f32_e32 v42, v20, v14
	;; [unrolled: 1-line block ×3, first 2 shown]
	v_dual_sub_f32 v39, v13, v15 :: v_dual_sub_f32 v22, v22, v8
	s_delay_alu instid0(VALU_DEP_4) | instskip(SKIP_4) | instid1(VALU_DEP_4)
	v_fma_f32 v47, -0.5, v38, v47
	v_add_f32_e32 v13, v13, v15
	v_add_f32_e32 v23, v46, v9
	;; [unrolled: 1-line block ×3, first 2 shown]
	v_fma_f32 v8, -0.5, v3, v45
	v_dual_sub_f32 v57, v14, v16 :: v_dual_fmac_f32 v48, -0.5, v13
	v_dual_add_f32 v43, v14, v16 :: v_dual_add_f32 v56, v21, v17
	v_sub_f32_e32 v44, v17, v19
	v_sub_f32_e32 v18, v9, v11
	v_add_f32_e32 v9, v9, v11
	s_delay_alu instid0(VALU_DEP_4)
	v_fma_f32 v20, -0.5, v43, v20
	v_add_f32_e32 v17, v17, v19
	v_sub_f32_e32 v41, v10, v12
	v_fmamk_f32 v14, v18, 0x3f5db3d7, v8
	v_fma_f32 v9, -0.5, v9, v46
	v_fmac_f32_e32 v8, 0xbf5db3d7, v18
	v_fmamk_f32 v18, v44, 0x3f5db3d7, v20
	v_dual_fmac_f32 v20, 0xbf5db3d7, v44 :: v_dual_fmac_f32 v21, -0.5, v17
	v_dual_add_f32 v10, v37, v12 :: v_dual_add_f32 v3, v23, v11
	v_add_f32_e32 v11, v40, v15
	v_fmamk_f32 v15, v22, 0xbf5db3d7, v9
	v_dual_fmac_f32 v9, 0x3f5db3d7, v22 :: v_dual_add_f32 v12, v42, v16
	v_fmamk_f32 v16, v39, 0x3f5db3d7, v47
	v_fmamk_f32 v17, v41, 0xbf5db3d7, v48
	v_fmac_f32_e32 v47, 0xbf5db3d7, v39
	v_dual_fmac_f32 v48, 0x3f5db3d7, v41 :: v_dual_add_f32 v13, v56, v19
	v_dual_fmamk_f32 v19, v57, 0xbf5db3d7, v21 :: v_dual_lshlrev_b32 v44, 3, v52
	v_fmac_f32_e32 v21, 0x3f5db3d7, v57
	ds_store_2addr_b64 v55, v[2:3], v[14:15] offset1:6
	ds_store_b64 v55, v[8:9] offset:96
	ds_store_2addr_b64 v49, v[10:11], v[16:17] offset1:6
	ds_store_b64 v49, v[47:48] offset:96
	;; [unrolled: 2-line block ×3, first 2 shown]
	v_lshlrev_b32_e32 v2, 4, v50
	global_wb scope:SCOPE_SE
	s_wait_dscnt 0x0
	s_barrier_signal -1
	s_barrier_wait -1
	global_inv scope:SCOPE_SE
	s_clause 0x2
	global_load_b128 v[8:11], v53, s[8:9] offset:128
	global_load_b128 v[12:15], v54, s[8:9] offset:128
	global_load_b128 v[16:19], v2, s[8:9] offset:128
	v_lshrrev_b16 v45, 10, v1
	v_lshrrev_b16 v2, 1, v7
	ds_load_2addr_b64 v[37:40], v5 offset0:120 offset1:246
	v_lshrrev_b16 v34, 10, v0
	v_and_b32_e32 v1, 0xffff, v24
	v_mul_lo_u16 v20, v45, 54
	v_and_b32_e32 v2, 0xffff, v2
	v_lshlrev_b32_e32 v49, 3, v50
	s_delay_alu instid0(VALU_DEP_4) | instskip(NEXT) | instid1(VALU_DEP_4)
	v_mul_u32_u24_e32 v41, 0x1b0, v1
	v_sub_nc_u16 v20, v36, v20
	s_delay_alu instid0(VALU_DEP_4) | instskip(SKIP_2) | instid1(VALU_DEP_4)
	v_mul_u32_u24_e32 v0, 0x97b5, v2
	v_mul_lo_u16 v2, v34, 54
	v_add3_u32 v33, 0, v33, v49
	v_and_b32_e32 v48, 0xff, v20
	ds_load_2addr_b64 v[20:23], v4 offset0:116 offset1:242
	v_lshrrev_b32_e32 v46, 20, v0
	v_sub_nc_u16 v0, v30, v2
	s_delay_alu instid0(VALU_DEP_2) | instskip(NEXT) | instid1(VALU_DEP_1)
	v_mul_lo_u16 v24, v46, 54
	v_sub_nc_u16 v7, v7, v24
	s_wait_loadcnt_dscnt 0x200
	v_mul_f32_e32 v49, v11, v21
	s_wait_loadcnt 0x1
	v_mul_f32_e32 v55, v13, v38
	v_dual_mul_f32 v13, v13, v37 :: v_dual_mul_f32 v56, v15, v23
	v_mul_f32_e32 v15, v15, v22
	s_wait_loadcnt 0x0
	v_mul_f32_e32 v57, v17, v40
	v_mul_f32_e32 v17, v17, v39
	v_fmac_f32_e32 v13, v12, v38
	v_fmac_f32_e32 v15, v14, v23
	v_and_b32_e32 v3, 0xffff, v25
	ds_load_b64 v[24:25], v35 offset:8064
	v_fmac_f32_e32 v17, v16, v40
	v_mul_u32_u24_e32 v42, 0x1b0, v3
	s_delay_alu instid0(VALU_DEP_1) | instskip(SKIP_3) | instid1(VALU_DEP_1)
	v_add3_u32 v54, 0, v42, v44
	s_wait_dscnt 0x0
	v_mul_f32_e32 v58, v25, v19
	v_mul_f32_e32 v19, v24, v19
	v_fmac_f32_e32 v19, v25, v18
	v_and_b32_e32 v47, 0xff, v0
	ds_load_2addr_b64 v[0:3], v6 offset0:124 offset1:250
	v_and_b32_e32 v52, 0xffff, v7
	v_sub_f32_e32 v40, v17, v19
	v_lshlrev_b32_e32 v50, 4, v47
	s_wait_dscnt 0x0
	v_mul_f32_e32 v7, v9, v3
	v_mul_f32_e32 v9, v9, v2
	s_delay_alu instid0(VALU_DEP_2) | instskip(NEXT) | instid1(VALU_DEP_2)
	v_fma_f32 v2, v8, v2, -v7
	v_fmac_f32_e32 v9, v8, v3
	v_fma_f32 v8, v16, v39, -v57
	v_lshlrev_b32_e32 v43, 3, v51
	v_fma_f32 v3, v10, v20, -v49
	v_add_f32_e32 v49, v1, v17
	v_mul_f32_e32 v11, v11, v20
	v_add_f32_e32 v38, v0, v8
	v_add3_u32 v53, 0, v41, v43
	ds_load_2addr_b64 v[41:44], v35 offset1:126
	v_fma_f32 v7, v12, v37, -v55
	v_fmac_f32_e32 v11, v10, v21
	v_fma_f32 v10, v14, v22, -v56
	v_fma_f32 v12, v24, v18, -v58
	v_add_f32_e32 v16, v2, v3
	v_add_f32_e32 v17, v17, v19
	v_sub_f32_e32 v21, v2, v3
	v_add_f32_e32 v23, v7, v10
	v_add_f32_e32 v39, v8, v12
	v_sub_f32_e32 v55, v8, v12
	v_sub_f32_e32 v37, v7, v10
	v_fmac_f32_e32 v1, -0.5, v17
	global_wb scope:SCOPE_SE
	s_wait_dscnt 0x0
	v_fma_f32 v0, -0.5, v39, v0
	s_barrier_signal -1
	s_barrier_wait -1
	global_inv scope:SCOPE_SE
	v_dual_fmamk_f32 v17, v40, 0x3f5db3d7, v0 :: v_dual_add_f32 v20, v42, v9
	v_add_f32_e32 v22, v43, v7
	v_fma_f32 v43, -0.5, v23, v43
	v_and_b32_e32 v23, 0xffff, v34
	v_lshlrev_b32_e32 v34, 3, v48
	v_sub_f32_e32 v18, v9, v11
	v_add_f32_e32 v9, v9, v11
	v_add_f32_e32 v14, v41, v2
	v_fma_f32 v7, -0.5, v16, v41
	v_fmac_f32_e32 v0, 0xbf5db3d7, v40
	v_mul_u32_u24_e32 v23, 0x510, v23
	v_fma_f32 v8, -0.5, v9, v42
	v_lshlrev_b32_e32 v42, 3, v52
	v_dual_sub_f32 v24, v13, v15 :: v_dual_add_f32 v25, v44, v13
	v_add_f32_e32 v13, v13, v15
	v_add_f32_e32 v2, v14, v3
	v_dual_add_f32 v3, v20, v11 :: v_dual_fmamk_f32 v14, v21, 0xbf5db3d7, v8
	v_fmac_f32_e32 v8, 0x3f5db3d7, v21
	s_delay_alu instid0(VALU_DEP_4)
	v_dual_fmac_f32 v44, -0.5, v13 :: v_dual_fmamk_f32 v13, v18, 0x3f5db3d7, v7
	v_fmac_f32_e32 v7, 0xbf5db3d7, v18
	v_lshlrev_b32_e32 v51, 4, v48
	v_dual_add_f32 v9, v22, v10 :: v_dual_add_f32 v10, v25, v15
	v_fmamk_f32 v15, v24, 0x3f5db3d7, v43
	v_dual_fmamk_f32 v16, v37, 0xbf5db3d7, v44 :: v_dual_fmac_f32 v43, 0xbf5db3d7, v24
	v_dual_fmac_f32 v44, 0x3f5db3d7, v37 :: v_dual_add_f32 v11, v38, v12
	v_add_f32_e32 v12, v49, v19
	v_fmamk_f32 v18, v55, 0xbf5db3d7, v1
	v_fmac_f32_e32 v1, 0x3f5db3d7, v55
	ds_store_2addr_b64 v53, v[2:3], v[13:14] offset1:18
	ds_store_b64 v53, v[7:8] offset:288
	ds_store_2addr_b64 v54, v[9:10], v[15:16] offset1:18
	ds_store_b64 v54, v[43:44] offset:288
	;; [unrolled: 2-line block ×3, first 2 shown]
	v_lshlrev_b32_e32 v0, 4, v52
	global_wb scope:SCOPE_SE
	s_wait_dscnt 0x0
	s_barrier_signal -1
	s_barrier_wait -1
	global_inv scope:SCOPE_SE
	s_clause 0x2
	global_load_b128 v[7:10], v50, s[8:9] offset:416
	global_load_b128 v[11:14], v51, s[8:9] offset:416
	;; [unrolled: 1-line block ×3, first 2 shown]
	ds_load_2addr_b64 v[0:3], v6 offset0:124 offset1:250
	ds_load_2addr_b64 v[19:22], v4 offset0:116 offset1:242
	;; [unrolled: 1-line block ×3, first 2 shown]
	v_mul_u32_u24_e32 v25, 0x510, v46
	v_and_b32_e32 v24, 0xffff, v45
	ds_load_b64 v[5:6], v35 offset:8064
	v_add3_u32 v25, 0, v25, v42
	ds_load_2addr_b64 v[42:45], v35 offset1:126
	v_mul_u32_u24_e32 v24, 0x510, v24
	global_wb scope:SCOPE_SE
	s_wait_loadcnt_dscnt 0x0
	s_barrier_signal -1
	s_barrier_wait -1
	global_inv scope:SCOPE_SE
	v_add3_u32 v24, 0, v24, v34
	v_mul_f32_e32 v34, v10, v20
	v_mul_f32_e32 v46, v12, v39
	;; [unrolled: 1-line block ×6, first 2 shown]
	s_delay_alu instid0(VALU_DEP_4) | instskip(NEXT) | instid1(VALU_DEP_3)
	v_fmac_f32_e32 v12, v11, v39
	v_dual_fmac_f32 v16, v15, v41 :: v_dual_lshlrev_b32 v33, 3, v47
	v_mul_f32_e32 v47, v14, v22
	v_mul_f32_e32 v14, v14, v21
	v_fmac_f32_e32 v10, v9, v20
	s_delay_alu instid0(VALU_DEP_4) | instskip(NEXT) | instid1(VALU_DEP_3)
	v_add3_u32 v23, 0, v23, v33
	v_fmac_f32_e32 v14, v13, v22
	v_dual_add_f32 v22, v45, v12 :: v_dual_mul_f32 v33, v8, v3
	v_mul_f32_e32 v8, v8, v2
	s_delay_alu instid0(VALU_DEP_2) | instskip(NEXT) | instid1(VALU_DEP_2)
	v_fma_f32 v2, v7, v2, -v33
	v_fmac_f32_e32 v8, v7, v3
	v_fma_f32 v3, v9, v19, -v34
	v_fma_f32 v7, v11, v38, -v46
	v_fma_f32 v9, v13, v21, -v47
	v_sub_f32_e32 v21, v12, v14
	v_add_f32_e32 v12, v12, v14
	v_fma_f32 v11, v15, v40, -v48
	s_delay_alu instid0(VALU_DEP_4) | instskip(NEXT) | instid1(VALU_DEP_3)
	v_dual_add_f32 v40, v1, v16 :: v_dual_sub_f32 v33, v7, v9
	v_dual_add_f32 v20, v7, v9 :: v_dual_fmac_f32 v45, -0.5, v12
	v_mul_f32_e32 v49, v6, v18
	v_mul_f32_e32 v18, v5, v18
	v_add_f32_e32 v34, v0, v11
	s_delay_alu instid0(VALU_DEP_2) | instskip(NEXT) | instid1(VALU_DEP_1)
	v_fmac_f32_e32 v18, v6, v17
	v_dual_add_f32 v6, v2, v3 :: v_dual_sub_f32 v39, v16, v18
	v_add_f32_e32 v16, v16, v18
	s_delay_alu instid0(VALU_DEP_1)
	v_dual_add_f32 v12, v40, v18 :: v_dual_fmac_f32 v1, -0.5, v16
	v_fmamk_f32 v16, v33, 0xbf5db3d7, v45
	v_fma_f32 v13, v5, v17, -v49
	v_add_f32_e32 v17, v43, v8
	v_add_nc_u32_e32 v37, 0x800, v35
	v_fmac_f32_e32 v45, 0x3f5db3d7, v33
	s_delay_alu instid0(VALU_DEP_4) | instskip(SKIP_2) | instid1(VALU_DEP_3)
	v_add_f32_e32 v38, v11, v13
	v_sub_f32_e32 v41, v11, v13
	v_add_f32_e32 v11, v34, v13
	v_fma_f32 v0, -0.5, v38, v0
	v_add_f32_e32 v5, v42, v2
	v_dual_sub_f32 v2, v2, v3 :: v_dual_sub_f32 v15, v8, v10
	v_add_f32_e32 v8, v8, v10
	s_delay_alu instid0(VALU_DEP_1)
	v_fma_f32 v8, -0.5, v8, v43
	v_add_f32_e32 v19, v44, v7
	v_fma_f32 v7, -0.5, v6, v42
	v_fma_f32 v44, -0.5, v20, v44
	v_add_f32_e32 v6, v17, v10
	v_add_f32_e32 v10, v22, v14
	v_fmamk_f32 v14, v2, 0xbf5db3d7, v8
	v_dual_fmac_f32 v8, 0x3f5db3d7, v2 :: v_dual_fmamk_f32 v13, v15, 0x3f5db3d7, v7
	v_dual_fmamk_f32 v2, v39, 0x3f5db3d7, v0 :: v_dual_add_f32 v5, v5, v3
	v_fmac_f32_e32 v7, 0xbf5db3d7, v15
	v_dual_add_f32 v9, v19, v9 :: v_dual_fmac_f32 v0, 0xbf5db3d7, v39
	v_fmamk_f32 v15, v21, 0x3f5db3d7, v44
	v_dual_fmac_f32 v44, 0xbf5db3d7, v21 :: v_dual_fmamk_f32 v3, v41, 0xbf5db3d7, v1
	v_fmac_f32_e32 v1, 0x3f5db3d7, v41
	ds_store_2addr_b64 v23, v[5:6], v[13:14] offset1:54
	ds_store_b64 v23, v[7:8] offset:864
	ds_store_2addr_b64 v24, v[9:10], v[15:16] offset1:54
	ds_store_b64 v24, v[44:45] offset:864
	ds_store_2addr_b64 v25, v[11:12], v[2:3] offset1:54
	ds_store_b64 v25, v[0:1] offset:864
	global_wb scope:SCOPE_SE
	s_wait_dscnt 0x0
	s_barrier_signal -1
	s_barrier_wait -1
	global_inv scope:SCOPE_SE
	ds_load_2addr_b64 v[14:17], v35 offset1:162
	ds_load_2addr_b64 v[22:25], v37 offset0:68 offset1:230
	ds_load_2addr_b64 v[18:21], v4 offset0:8 offset1:170
	ds_load_b64 v[33:34], v35 offset:7776
                                        ; implicit-def: $vgpr9
                                        ; implicit-def: $vgpr13
	s_and_saveexec_b32 s1, s0
	s_cbranch_execz .LBB0_25
; %bb.24:
	v_add_nc_u32_e32 v0, 0x200, v35
	v_add_nc_u32_e32 v6, 0x1200, v35
	ds_load_2addr_b64 v[2:5], v0 offset0:62 offset1:224
	v_add_nc_u32_e32 v1, 0xc00, v35
	v_add_nc_u32_e32 v0, 0x1c00, v35
	ds_load_2addr_b32 v[31:32], v1 offset0:132 offset1:133
	ds_load_2addr_b64 v[6:9], v6 offset0:36 offset1:198
	ds_load_2addr_b64 v[10:13], v0 offset0:40 offset1:202
	s_wait_dscnt 0x3
	v_dual_mov_b32 v0, v4 :: v_dual_mov_b32 v1, v5
.LBB0_25:
	s_wait_alu 0xfffe
	s_or_b32 exec_lo, exec_lo, s1
	v_mul_u32_u24_e32 v4, 6, v30
	s_delay_alu instid0(VALU_DEP_1)
	v_lshlrev_b32_e32 v4, 3, v4
	s_clause 0x2
	global_load_b128 v[38:41], v4, s[8:9] offset:1280
	global_load_b128 v[42:45], v4, s[8:9] offset:1296
	;; [unrolled: 1-line block ×3, first 2 shown]
	v_add_nc_u32_e32 v50, 0x1400, v35
	global_wb scope:SCOPE_SE
	s_wait_loadcnt_dscnt 0x0
	s_barrier_signal -1
	s_barrier_wait -1
	global_inv scope:SCOPE_SE
	v_mul_f32_e32 v5, v39, v16
	v_dual_mul_f32 v4, v39, v17 :: v_dual_mul_f32 v39, v41, v23
	v_mul_f32_e32 v41, v41, v22
	v_dual_mul_f32 v51, v43, v25 :: v_dual_mul_f32 v52, v45, v19
	v_dual_mul_f32 v43, v43, v24 :: v_dual_mul_f32 v54, v49, v34
	s_delay_alu instid0(VALU_DEP_4)
	v_fma_f32 v4, v38, v16, -v4
	v_fma_f32 v16, v40, v22, -v39
	v_mul_f32_e32 v45, v45, v18
	v_fma_f32 v18, v44, v18, -v52
	v_fma_f32 v22, v48, v33, -v54
	v_mul_f32_e32 v53, v47, v21
	v_fmac_f32_e32 v5, v38, v17
	v_fma_f32 v17, v42, v24, -v51
	v_fmac_f32_e32 v45, v44, v19
	v_mul_f32_e32 v47, v47, v20
	v_fma_f32 v19, v46, v20, -v53
	v_dual_mul_f32 v49, v49, v33 :: v_dual_add_f32 v20, v4, v22
	v_sub_f32_e32 v4, v4, v22
	v_add_f32_e32 v24, v17, v18
	s_delay_alu instid0(VALU_DEP_4) | instskip(SKIP_3) | instid1(VALU_DEP_4)
	v_add_f32_e32 v22, v16, v19
	v_dual_sub_f32 v16, v16, v19 :: v_dual_fmac_f32 v43, v42, v25
	v_fmac_f32_e32 v47, v46, v21
	v_sub_f32_e32 v17, v18, v17
	v_add_f32_e32 v33, v22, v20
	v_sub_f32_e32 v38, v22, v20
	v_sub_f32_e32 v20, v20, v24
	v_dual_fmac_f32 v49, v48, v34 :: v_dual_sub_f32 v18, v45, v43
	v_dual_sub_f32 v22, v24, v22 :: v_dual_add_f32 v25, v43, v45
	v_sub_f32_e32 v42, v17, v16
	s_delay_alu instid0(VALU_DEP_3) | instskip(SKIP_3) | instid1(VALU_DEP_3)
	v_add_f32_e32 v21, v5, v49
	v_fmac_f32_e32 v41, v40, v23
	v_dual_sub_f32 v5, v5, v49 :: v_dual_mul_f32 v20, 0x3f4a47b2, v20
	v_add_f32_e32 v40, v17, v16
	v_dual_sub_f32 v16, v16, v4 :: v_dual_add_f32 v23, v41, v47
	v_add_f32_e32 v24, v24, v33
	s_delay_alu instid0(VALU_DEP_3) | instskip(NEXT) | instid1(VALU_DEP_3)
	v_dual_add_f32 v33, v40, v4 :: v_dual_mul_f32 v40, 0x3d64c772, v22
	v_dual_add_f32 v34, v23, v21 :: v_dual_sub_f32 v19, v41, v47
	s_delay_alu instid0(VALU_DEP_1)
	v_dual_mul_f32 v44, 0x3f5ff5aa, v16 :: v_dual_sub_f32 v43, v18, v19
	v_dual_sub_f32 v39, v23, v21 :: v_dual_mul_f32 v42, 0xbf08b237, v42
	v_sub_f32_e32 v23, v25, v23
	v_dual_add_f32 v41, v18, v19 :: v_dual_sub_f32 v18, v5, v18
	v_sub_f32_e32 v17, v4, v17
	v_add_f32_e32 v4, v24, v14
	v_dual_fmamk_f32 v14, v22, 0x3d64c772, v20 :: v_dual_sub_f32 v21, v21, v25
	v_sub_f32_e32 v19, v19, v5
	v_fma_f32 v22, 0x3f3bfb3b, v38, -v40
	v_fma_f32 v40, 0x3f5ff5aa, v16, -v42
	v_fmamk_f32 v16, v24, 0xbf955555, v4
	v_mul_f32_e32 v21, 0x3f4a47b2, v21
	v_fma_f32 v20, 0xbf3bfb3b, v38, -v20
	v_fmamk_f32 v38, v17, 0x3eae86e6, v42
	v_add_f32_e32 v25, v25, v34
	v_dual_add_f32 v34, v41, v5 :: v_dual_mul_f32 v41, 0x3d64c772, v23
	v_add_f32_e32 v22, v22, v16
	v_dual_add_f32 v24, v14, v16 :: v_dual_mul_f32 v43, 0xbf08b237, v43
	s_delay_alu instid0(VALU_DEP_4)
	v_dual_fmac_f32 v38, 0x3ee1c552, v33 :: v_dual_add_f32 v5, v25, v15
	v_fmamk_f32 v15, v23, 0x3d64c772, v21
	v_fma_f32 v23, 0x3f3bfb3b, v39, -v41
	v_fma_f32 v21, 0xbf3bfb3b, v39, -v21
	v_fmamk_f32 v39, v18, 0x3eae86e6, v43
	v_mul_f32_e32 v45, 0x3f5ff5aa, v19
	v_fma_f32 v42, 0xbeae86e6, v17, -v44
	s_delay_alu instid0(VALU_DEP_3) | instskip(NEXT) | instid1(VALU_DEP_1)
	v_fmac_f32_e32 v39, 0x3ee1c552, v34
	v_dual_fmamk_f32 v17, v25, 0xbf955555, v5 :: v_dual_add_f32 v14, v39, v24
	v_sub_f32_e32 v24, v24, v39
	v_fma_f32 v41, 0x3f5ff5aa, v19, -v43
	v_fma_f32 v43, 0xbeae86e6, v18, -v45
	s_delay_alu instid0(VALU_DEP_1) | instskip(NEXT) | instid1(VALU_DEP_3)
	v_fmac_f32_e32 v43, 0x3ee1c552, v34
	v_dual_fmac_f32 v41, 0x3ee1c552, v34 :: v_dual_add_f32 v34, v21, v17
	v_fmac_f32_e32 v40, 0x3ee1c552, v33
	v_dual_fmac_f32 v42, 0x3ee1c552, v33 :: v_dual_add_f32 v33, v20, v16
	s_delay_alu instid0(VALU_DEP_3) | instskip(SKIP_2) | instid1(VALU_DEP_4)
	v_sub_f32_e32 v18, v22, v41
	v_add_f32_e32 v25, v15, v17
	v_add_f32_e32 v21, v23, v17
	v_dual_sub_f32 v17, v34, v42 :: v_dual_add_f32 v16, v43, v33
	v_add_f32_e32 v20, v41, v22
	v_sub_f32_e32 v22, v33, v43
	v_sub_f32_e32 v15, v25, v38
	v_add_f32_e32 v19, v40, v21
	v_sub_f32_e32 v21, v21, v40
	v_add_f32_e32 v23, v42, v34
	v_add_f32_e32 v25, v38, v25
	ds_store_2addr_b64 v35, v[4:5], v[14:15] offset1:162
	ds_store_2addr_b64 v37, v[16:17], v[18:19] offset0:68 offset1:230
	ds_store_2addr_b64 v50, v[20:21], v[22:23] offset0:8 offset1:170
	ds_store_b64 v35, v[24:25] offset:7776
	s_and_saveexec_b32 s1, s0
	s_cbranch_execz .LBB0_27
; %bb.26:
	v_subrev_nc_u32_e32 v4, 36, v30
	v_dual_mov_b32 v5, 0 :: v_dual_add_nc_u32 v34, 0xc00, v35
	s_delay_alu instid0(VALU_DEP_2) | instskip(NEXT) | instid1(VALU_DEP_1)
	v_cndmask_b32_e64 v4, v4, v36, s0
	v_mul_i32_i24_e32 v4, 6, v4
	s_delay_alu instid0(VALU_DEP_1) | instskip(NEXT) | instid1(VALU_DEP_1)
	v_lshlrev_b64_e32 v[4:5], 3, v[4:5]
	v_add_co_u32 v4, s0, s8, v4
	s_wait_alu 0xf1ff
	s_delay_alu instid0(VALU_DEP_2)
	v_add_co_ci_u32_e64 v5, s0, s9, v5, s0
	s_clause 0x2
	global_load_b128 v[14:17], v[4:5], off offset:1280
	global_load_b128 v[18:21], v[4:5], off offset:1312
	;; [unrolled: 1-line block ×3, first 2 shown]
	v_add_nc_u32_e32 v36, 0x1800, v35
	s_wait_loadcnt 0x2
	v_dual_mul_f32 v4, v1, v15 :: v_dual_mul_f32 v39, v32, v17
	s_wait_loadcnt 0x1
	v_mul_f32_e32 v5, v13, v21
	s_wait_loadcnt 0x0
	v_dual_mul_f32 v37, v9, v25 :: v_dual_mul_f32 v38, v7, v23
	v_mul_f32_e32 v23, v6, v23
	v_dual_mul_f32 v40, v11, v19 :: v_dual_mul_f32 v21, v12, v21
	s_delay_alu instid0(VALU_DEP_3) | instskip(SKIP_4) | instid1(VALU_DEP_4)
	v_fma_f32 v6, v6, v22, -v38
	v_mul_f32_e32 v15, v0, v15
	v_fma_f32 v0, v0, v14, -v4
	v_fma_f32 v4, v12, v20, -v5
	;; [unrolled: 1-line block ×3, first 2 shown]
	v_fmac_f32_e32 v15, v1, v14
	s_delay_alu instid0(VALU_DEP_3) | instskip(SKIP_1) | instid1(VALU_DEP_4)
	v_sub_f32_e32 v1, v0, v4
	v_dual_add_f32 v0, v0, v4 :: v_dual_fmac_f32 v23, v7, v22
	v_dual_sub_f32 v7, v5, v6 :: v_dual_add_f32 v4, v6, v5
	v_fmac_f32_e32 v21, v13, v20
	v_mul_f32_e32 v19, v10, v19
	v_fma_f32 v10, v10, v18, -v40
	s_delay_alu instid0(VALU_DEP_4) | instskip(NEXT) | instid1(VALU_DEP_4)
	v_dual_sub_f32 v14, v1, v7 :: v_dual_mul_f32 v17, v31, v17
	v_sub_f32_e32 v6, v15, v21
	s_delay_alu instid0(VALU_DEP_4) | instskip(NEXT) | instid1(VALU_DEP_3)
	v_fmac_f32_e32 v19, v11, v18
	v_fmac_f32_e32 v17, v32, v16
	v_mul_f32_e32 v25, v8, v25
	v_fma_f32 v8, v31, v16, -v39
	s_delay_alu instid0(VALU_DEP_2) | instskip(NEXT) | instid1(VALU_DEP_2)
	v_fmac_f32_e32 v25, v9, v24
	v_add_f32_e32 v5, v8, v10
	v_add_nc_u32_e32 v33, 0x200, v35
	s_delay_alu instid0(VALU_DEP_3) | instskip(SKIP_1) | instid1(VALU_DEP_4)
	v_dual_sub_f32 v9, v8, v10 :: v_dual_add_f32 v12, v23, v25
	v_sub_f32_e32 v8, v25, v23
	v_sub_f32_e32 v20, v4, v5
	v_add_f32_e32 v11, v15, v21
	v_add_f32_e32 v21, v5, v0
	s_delay_alu instid0(VALU_DEP_4) | instskip(NEXT) | instid1(VALU_DEP_3)
	v_dual_add_f32 v13, v17, v19 :: v_dual_sub_f32 v22, v6, v8
	v_sub_f32_e32 v16, v11, v12
	s_delay_alu instid0(VALU_DEP_2) | instskip(SKIP_3) | instid1(VALU_DEP_4)
	v_add_f32_e32 v18, v13, v11
	v_dual_sub_f32 v10, v17, v19 :: v_dual_sub_f32 v19, v0, v4
	v_add_f32_e32 v4, v4, v21
	v_sub_f32_e32 v17, v12, v13
	v_add_f32_e32 v12, v12, v18
	s_delay_alu instid0(VALU_DEP_4) | instskip(SKIP_3) | instid1(VALU_DEP_2)
	v_sub_f32_e32 v23, v8, v10
	v_add_f32_e32 v8, v8, v10
	v_dual_mul_f32 v18, 0x3f4a47b2, v19 :: v_dual_sub_f32 v15, v7, v9
	v_dual_sub_f32 v11, v13, v11 :: v_dual_sub_f32 v10, v10, v6
	v_dual_add_f32 v6, v8, v6 :: v_dual_mul_f32 v13, 0xbf08b237, v15
	v_add_f32_e32 v7, v7, v9
	v_mul_f32_e32 v15, 0x3f4a47b2, v16
	v_mul_f32_e32 v16, 0x3d64c772, v17
	s_delay_alu instid0(VALU_DEP_4) | instskip(NEXT) | instid1(VALU_DEP_4)
	v_dual_sub_f32 v9, v9, v1 :: v_dual_fmamk_f32 v24, v14, 0x3eae86e6, v13
	v_add_f32_e32 v7, v7, v1
	s_delay_alu instid0(VALU_DEP_2) | instskip(SKIP_1) | instid1(VALU_DEP_2)
	v_dual_mul_f32 v8, 0x3f5ff5aa, v9 :: v_dual_sub_f32 v5, v5, v0
	v_add_f32_e32 v0, v2, v4
	v_fma_f32 v14, 0xbeae86e6, v14, -v8
	s_delay_alu instid0(VALU_DEP_2) | instskip(SKIP_2) | instid1(VALU_DEP_4)
	v_fmamk_f32 v4, v4, 0xbf955555, v0
	v_fma_f32 v8, 0xbf3bfb3b, v11, -v15
	v_fma_f32 v11, 0x3f3bfb3b, v11, -v16
	v_fmac_f32_e32 v14, 0x3ee1c552, v7
	v_mul_f32_e32 v21, 0xbf08b237, v23
	s_delay_alu instid0(VALU_DEP_1) | instskip(SKIP_1) | instid1(VALU_DEP_2)
	v_fma_f32 v16, 0x3f5ff5aa, v10, -v21
	v_dual_add_f32 v1, v3, v12 :: v_dual_fmamk_f32 v2, v22, 0x3eae86e6, v21
	v_fmac_f32_e32 v16, 0x3ee1c552, v6
	v_mul_f32_e32 v23, 0x3f5ff5aa, v10
	s_delay_alu instid0(VALU_DEP_3) | instskip(SKIP_3) | instid1(VALU_DEP_4)
	v_fmamk_f32 v10, v12, 0xbf955555, v1
	v_mul_f32_e32 v19, 0x3d64c772, v20
	v_fmac_f32_e32 v2, 0x3ee1c552, v6
	v_fmamk_f32 v3, v20, 0x3d64c772, v18
	v_dual_add_f32 v12, v8, v10 :: v_dual_fmamk_f32 v17, v17, 0x3d64c772, v15
	v_fma_f32 v15, 0xbf3bfb3b, v5, -v18
	v_fma_f32 v18, 0xbeae86e6, v22, -v23
	v_add_f32_e32 v8, v11, v10
	v_fma_f32 v5, 0x3f3bfb3b, v5, -v19
	v_sub_f32_e32 v11, v12, v14
	s_delay_alu instid0(VALU_DEP_4) | instskip(SKIP_3) | instid1(VALU_DEP_4)
	v_dual_add_f32 v15, v15, v4 :: v_dual_fmac_f32 v18, 0x3ee1c552, v6
	v_fmac_f32_e32 v24, 0x3ee1c552, v7
	v_add_f32_e32 v6, v17, v10
	v_fma_f32 v9, 0x3f5ff5aa, v9, -v13
	v_dual_add_f32 v19, v5, v4 :: v_dual_add_f32 v10, v18, v15
	v_add_f32_e32 v17, v3, v4
	s_delay_alu instid0(VALU_DEP_4) | instskip(NEXT) | instid1(VALU_DEP_3)
	v_add_f32_e32 v3, v24, v6
	v_dual_sub_f32 v13, v6, v24 :: v_dual_add_f32 v6, v16, v19
	v_fmac_f32_e32 v9, 0x3ee1c552, v7
	v_add_f32_e32 v5, v14, v12
	v_add_f32_e32 v12, v2, v17
	v_sub_f32_e32 v2, v17, v2
	s_delay_alu instid0(VALU_DEP_4)
	v_dual_sub_f32 v4, v15, v18 :: v_dual_sub_f32 v7, v8, v9
	v_add_f32_e32 v9, v9, v8
	v_sub_f32_e32 v8, v19, v16
	ds_store_2addr_b64 v33, v[0:1], v[12:13] offset0:62 offset1:224
	ds_store_2addr_b64 v34, v[10:11], v[8:9] offset0:66 offset1:228
	;; [unrolled: 1-line block ×3, first 2 shown]
	ds_store_b64 v35, v[2:3] offset:8784
.LBB0_27:
	s_wait_alu 0xfffe
	s_or_b32 exec_lo, exec_lo, s1
	global_wb scope:SCOPE_SE
	s_wait_dscnt 0x0
	s_barrier_signal -1
	s_barrier_wait -1
	global_inv scope:SCOPE_SE
	s_and_saveexec_b32 s0, vcc_lo
	s_cbranch_execz .LBB0_29
; %bb.28:
	v_mul_lo_u32 v0, s3, v28
	v_mul_lo_u32 v1, s2, v29
	v_mad_co_u64_u32 v[4:5], null, s2, v28, 0
	v_dual_mov_b32 v31, 0 :: v_dual_add_nc_u32 v8, 0x7e, v30
	v_lshl_add_u32 v18, v30, 3, 0
	v_lshlrev_b64_e32 v[6:7], 3, v[26:27]
	s_delay_alu instid0(VALU_DEP_3) | instskip(SKIP_1) | instid1(VALU_DEP_4)
	v_dual_mov_b32 v9, v31 :: v_dual_add_nc_u32 v10, 0xfc, v30
	v_add3_u32 v5, v5, v1, v0
	v_dual_mov_b32 v11, v31 :: v_dual_add_nc_u32 v14, 0x400, v18
	ds_load_2addr_b64 v[0:3], v18 offset1:126
	v_lshlrev_b64_e32 v[12:13], 3, v[30:31]
	v_lshlrev_b64_e32 v[4:5], 3, v[4:5]
	;; [unrolled: 1-line block ×4, first 2 shown]
	v_dual_mov_b32 v17, v31 :: v_dual_add_nc_u32 v16, 0x1f8, v30
	v_add_nc_u32_e32 v19, 0xc00, v18
	v_add_co_u32 v4, vcc_lo, s6, v4
	s_wait_alu 0xfffd
	v_add_co_ci_u32_e32 v5, vcc_lo, s7, v5, vcc_lo
	v_mov_b32_e32 v15, v31
	s_delay_alu instid0(VALU_DEP_3) | instskip(SKIP_1) | instid1(VALU_DEP_3)
	v_add_co_u32 v20, vcc_lo, v4, v6
	s_wait_alu 0xfffd
	v_add_co_ci_u32_e32 v21, vcc_lo, v5, v7, vcc_lo
	ds_load_2addr_b64 v[4:7], v14 offset0:124 offset1:250
	v_add_nc_u32_e32 v14, 0x17a, v30
	v_add_co_u32 v12, vcc_lo, v20, v12
	s_wait_alu 0xfffd
	v_add_co_ci_u32_e32 v13, vcc_lo, v21, v13, vcc_lo
	v_add_co_u32 v8, vcc_lo, v20, v8
	v_lshlrev_b64_e32 v[14:15], 3, v[14:15]
	s_wait_alu 0xfffd
	v_add_co_ci_u32_e32 v9, vcc_lo, v21, v9, vcc_lo
	v_add_co_u32 v10, vcc_lo, v20, v10
	s_wait_alu 0xfffd
	v_add_co_ci_u32_e32 v11, vcc_lo, v21, v11, vcc_lo
	v_add_co_u32 v14, vcc_lo, v20, v14
	s_wait_alu 0xfffd
	v_add_co_ci_u32_e32 v15, vcc_lo, v21, v15, vcc_lo
	s_wait_dscnt 0x1
	s_clause 0x1
	global_store_b64 v[12:13], v[0:1], off
	global_store_b64 v[8:9], v[2:3], off
	s_wait_dscnt 0x0
	s_clause 0x1
	global_store_b64 v[10:11], v[4:5], off
	global_store_b64 v[14:15], v[6:7], off
	v_lshlrev_b64_e32 v[4:5], 3, v[16:17]
	v_dual_mov_b32 v7, v31 :: v_dual_add_nc_u32 v6, 0x276, v30
	v_dual_mov_b32 v15, v31 :: v_dual_add_nc_u32 v14, 0x1400, v18
	ds_load_2addr_b64 v[0:3], v19 offset0:120 offset1:246
	v_dual_mov_b32 v9, v31 :: v_dual_add_nc_u32 v8, 0x2f4, v30
	v_add_co_u32 v10, vcc_lo, v20, v4
	s_wait_alu 0xfffd
	v_add_co_ci_u32_e32 v11, vcc_lo, v21, v5, vcc_lo
	v_lshlrev_b64_e32 v[12:13], 3, v[6:7]
	ds_load_2addr_b64 v[4:7], v14 offset0:116 offset1:242
	v_add_nc_u32_e32 v14, 0x372, v30
	ds_load_b64 v[16:17], v18 offset:8064
	v_lshlrev_b64_e32 v[8:9], 3, v[8:9]
	v_add_nc_u32_e32 v30, 0x3f0, v30
	v_add_co_u32 v12, vcc_lo, v20, v12
	v_lshlrev_b64_e32 v[14:15], 3, v[14:15]
	s_wait_alu 0xfffd
	v_add_co_ci_u32_e32 v13, vcc_lo, v21, v13, vcc_lo
	v_add_co_u32 v8, vcc_lo, v20, v8
	v_lshlrev_b64_e32 v[18:19], 3, v[30:31]
	s_wait_alu 0xfffd
	v_add_co_ci_u32_e32 v9, vcc_lo, v21, v9, vcc_lo
	v_add_co_u32 v14, vcc_lo, v20, v14
	s_wait_alu 0xfffd
	v_add_co_ci_u32_e32 v15, vcc_lo, v21, v15, vcc_lo
	v_add_co_u32 v18, vcc_lo, v20, v18
	s_wait_alu 0xfffd
	v_add_co_ci_u32_e32 v19, vcc_lo, v21, v19, vcc_lo
	s_wait_dscnt 0x2
	s_clause 0x1
	global_store_b64 v[10:11], v[0:1], off
	global_store_b64 v[12:13], v[2:3], off
	s_wait_dscnt 0x1
	s_clause 0x1
	global_store_b64 v[8:9], v[4:5], off
	global_store_b64 v[14:15], v[6:7], off
	s_wait_dscnt 0x0
	global_store_b64 v[18:19], v[16:17], off
.LBB0_29:
	s_nop 0
	s_sendmsg sendmsg(MSG_DEALLOC_VGPRS)
	s_endpgm
	.section	.rodata,"a",@progbits
	.p2align	6, 0x0
	.amdhsa_kernel fft_rtc_fwd_len1134_factors_2_3_3_3_3_7_wgs_126_tpt_126_sp_op_CI_CI_unitstride_sbrr_C2R_dirReg
		.amdhsa_group_segment_fixed_size 0
		.amdhsa_private_segment_fixed_size 0
		.amdhsa_kernarg_size 104
		.amdhsa_user_sgpr_count 2
		.amdhsa_user_sgpr_dispatch_ptr 0
		.amdhsa_user_sgpr_queue_ptr 0
		.amdhsa_user_sgpr_kernarg_segment_ptr 1
		.amdhsa_user_sgpr_dispatch_id 0
		.amdhsa_user_sgpr_private_segment_size 0
		.amdhsa_wavefront_size32 1
		.amdhsa_uses_dynamic_stack 0
		.amdhsa_enable_private_segment 0
		.amdhsa_system_sgpr_workgroup_id_x 1
		.amdhsa_system_sgpr_workgroup_id_y 0
		.amdhsa_system_sgpr_workgroup_id_z 0
		.amdhsa_system_sgpr_workgroup_info 0
		.amdhsa_system_vgpr_workitem_id 0
		.amdhsa_next_free_vgpr 62
		.amdhsa_next_free_sgpr 39
		.amdhsa_reserve_vcc 1
		.amdhsa_float_round_mode_32 0
		.amdhsa_float_round_mode_16_64 0
		.amdhsa_float_denorm_mode_32 3
		.amdhsa_float_denorm_mode_16_64 3
		.amdhsa_fp16_overflow 0
		.amdhsa_workgroup_processor_mode 1
		.amdhsa_memory_ordered 1
		.amdhsa_forward_progress 0
		.amdhsa_round_robin_scheduling 0
		.amdhsa_exception_fp_ieee_invalid_op 0
		.amdhsa_exception_fp_denorm_src 0
		.amdhsa_exception_fp_ieee_div_zero 0
		.amdhsa_exception_fp_ieee_overflow 0
		.amdhsa_exception_fp_ieee_underflow 0
		.amdhsa_exception_fp_ieee_inexact 0
		.amdhsa_exception_int_div_zero 0
	.end_amdhsa_kernel
	.text
.Lfunc_end0:
	.size	fft_rtc_fwd_len1134_factors_2_3_3_3_3_7_wgs_126_tpt_126_sp_op_CI_CI_unitstride_sbrr_C2R_dirReg, .Lfunc_end0-fft_rtc_fwd_len1134_factors_2_3_3_3_3_7_wgs_126_tpt_126_sp_op_CI_CI_unitstride_sbrr_C2R_dirReg
                                        ; -- End function
	.section	.AMDGPU.csdata,"",@progbits
; Kernel info:
; codeLenInByte = 8492
; NumSgprs: 41
; NumVgprs: 62
; ScratchSize: 0
; MemoryBound: 0
; FloatMode: 240
; IeeeMode: 1
; LDSByteSize: 0 bytes/workgroup (compile time only)
; SGPRBlocks: 5
; VGPRBlocks: 7
; NumSGPRsForWavesPerEU: 41
; NumVGPRsForWavesPerEU: 62
; Occupancy: 16
; WaveLimiterHint : 1
; COMPUTE_PGM_RSRC2:SCRATCH_EN: 0
; COMPUTE_PGM_RSRC2:USER_SGPR: 2
; COMPUTE_PGM_RSRC2:TRAP_HANDLER: 0
; COMPUTE_PGM_RSRC2:TGID_X_EN: 1
; COMPUTE_PGM_RSRC2:TGID_Y_EN: 0
; COMPUTE_PGM_RSRC2:TGID_Z_EN: 0
; COMPUTE_PGM_RSRC2:TIDIG_COMP_CNT: 0
	.text
	.p2alignl 7, 3214868480
	.fill 96, 4, 3214868480
	.type	__hip_cuid_8643bad7d459803a,@object ; @__hip_cuid_8643bad7d459803a
	.section	.bss,"aw",@nobits
	.globl	__hip_cuid_8643bad7d459803a
__hip_cuid_8643bad7d459803a:
	.byte	0                               ; 0x0
	.size	__hip_cuid_8643bad7d459803a, 1

	.ident	"AMD clang version 19.0.0git (https://github.com/RadeonOpenCompute/llvm-project roc-6.4.0 25133 c7fe45cf4b819c5991fe208aaa96edf142730f1d)"
	.section	".note.GNU-stack","",@progbits
	.addrsig
	.addrsig_sym __hip_cuid_8643bad7d459803a
	.amdgpu_metadata
---
amdhsa.kernels:
  - .args:
      - .actual_access:  read_only
        .address_space:  global
        .offset:         0
        .size:           8
        .value_kind:     global_buffer
      - .offset:         8
        .size:           8
        .value_kind:     by_value
      - .actual_access:  read_only
        .address_space:  global
        .offset:         16
        .size:           8
        .value_kind:     global_buffer
      - .actual_access:  read_only
        .address_space:  global
        .offset:         24
        .size:           8
        .value_kind:     global_buffer
      - .actual_access:  read_only
        .address_space:  global
        .offset:         32
        .size:           8
        .value_kind:     global_buffer
      - .offset:         40
        .size:           8
        .value_kind:     by_value
      - .actual_access:  read_only
        .address_space:  global
        .offset:         48
        .size:           8
        .value_kind:     global_buffer
      - .actual_access:  read_only
        .address_space:  global
        .offset:         56
        .size:           8
        .value_kind:     global_buffer
      - .offset:         64
        .size:           4
        .value_kind:     by_value
      - .actual_access:  read_only
        .address_space:  global
        .offset:         72
        .size:           8
        .value_kind:     global_buffer
      - .actual_access:  read_only
        .address_space:  global
        .offset:         80
        .size:           8
        .value_kind:     global_buffer
      - .actual_access:  read_only
        .address_space:  global
        .offset:         88
        .size:           8
        .value_kind:     global_buffer
      - .actual_access:  write_only
        .address_space:  global
        .offset:         96
        .size:           8
        .value_kind:     global_buffer
    .group_segment_fixed_size: 0
    .kernarg_segment_align: 8
    .kernarg_segment_size: 104
    .language:       OpenCL C
    .language_version:
      - 2
      - 0
    .max_flat_workgroup_size: 126
    .name:           fft_rtc_fwd_len1134_factors_2_3_3_3_3_7_wgs_126_tpt_126_sp_op_CI_CI_unitstride_sbrr_C2R_dirReg
    .private_segment_fixed_size: 0
    .sgpr_count:     41
    .sgpr_spill_count: 0
    .symbol:         fft_rtc_fwd_len1134_factors_2_3_3_3_3_7_wgs_126_tpt_126_sp_op_CI_CI_unitstride_sbrr_C2R_dirReg.kd
    .uniform_work_group_size: 1
    .uses_dynamic_stack: false
    .vgpr_count:     62
    .vgpr_spill_count: 0
    .wavefront_size: 32
    .workgroup_processor_mode: 1
amdhsa.target:   amdgcn-amd-amdhsa--gfx1201
amdhsa.version:
  - 1
  - 2
...

	.end_amdgpu_metadata
